;; amdgpu-corpus repo=ROCm/rocFFT kind=compiled arch=gfx950 opt=O3
	.text
	.amdgcn_target "amdgcn-amd-amdhsa--gfx950"
	.amdhsa_code_object_version 6
	.protected	fft_rtc_back_len143_factors_13_11_wgs_182_tpt_13_dp_op_CI_CI_unitstride_sbrr_dirReg ; -- Begin function fft_rtc_back_len143_factors_13_11_wgs_182_tpt_13_dp_op_CI_CI_unitstride_sbrr_dirReg
	.globl	fft_rtc_back_len143_factors_13_11_wgs_182_tpt_13_dp_op_CI_CI_unitstride_sbrr_dirReg
	.p2align	8
	.type	fft_rtc_back_len143_factors_13_11_wgs_182_tpt_13_dp_op_CI_CI_unitstride_sbrr_dirReg,@function
fft_rtc_back_len143_factors_13_11_wgs_182_tpt_13_dp_op_CI_CI_unitstride_sbrr_dirReg: ; @fft_rtc_back_len143_factors_13_11_wgs_182_tpt_13_dp_op_CI_CI_unitstride_sbrr_dirReg
; %bb.0:
	s_load_dwordx4 s[4:7], s[0:1], 0x58
	s_load_dwordx4 s[8:11], s[0:1], 0x0
	;; [unrolled: 1-line block ×3, first 2 shown]
	v_mul_u32_u24_e32 v1, 0x13b2, v0
	v_lshrrev_b32_e32 v2, 16, v1
	v_mad_u64_u32 v[60:61], s[2:3], s2, 14, v[2:3]
	v_mov_b32_e32 v2, 0
	v_mov_b32_e32 v61, v2
	s_waitcnt lgkmcnt(0)
	v_cmp_lt_u64_e64 s[2:3], s[10:11], 2
	v_mov_b64_e32 v[62:63], 0
	s_and_b64 vcc, exec, s[2:3]
	v_mov_b64_e32 v[52:53], v[62:63]
	v_mov_b64_e32 v[54:55], v[60:61]
	s_cbranch_vccnz .LBB0_8
; %bb.1:
	s_load_dwordx2 s[2:3], s[0:1], 0x10
	s_add_u32 s16, s14, 8
	s_addc_u32 s17, s15, 0
	s_add_u32 s18, s12, 8
	s_addc_u32 s19, s13, 0
	s_waitcnt lgkmcnt(0)
	s_add_u32 s20, s2, 8
	v_mov_b64_e32 v[62:63], 0
	s_addc_u32 s21, s3, 0
	s_mov_b64 s[22:23], 1
	v_mov_b64_e32 v[52:53], v[62:63]
	v_mov_b64_e32 v[4:5], v[60:61]
.LBB0_2:                                ; =>This Inner Loop Header: Depth=1
	s_load_dwordx2 s[24:25], s[20:21], 0x0
                                        ; implicit-def: $vgpr54_vgpr55
	s_waitcnt lgkmcnt(0)
	v_or_b32_e32 v3, s25, v5
	v_cmp_ne_u64_e32 vcc, 0, v[2:3]
	s_and_saveexec_b64 s[2:3], vcc
	s_xor_b64 s[26:27], exec, s[2:3]
	s_cbranch_execz .LBB0_4
; %bb.3:                                ;   in Loop: Header=BB0_2 Depth=1
	v_cvt_f32_u32_e32 v1, s24
	v_cvt_f32_u32_e32 v3, s25
	s_sub_u32 s2, 0, s24
	s_subb_u32 s3, 0, s25
	v_fmac_f32_e32 v1, 0x4f800000, v3
	v_rcp_f32_e32 v1, v1
	s_nop 0
	v_mul_f32_e32 v1, 0x5f7ffffc, v1
	v_mul_f32_e32 v3, 0x2f800000, v1
	v_trunc_f32_e32 v3, v3
	v_fmac_f32_e32 v1, 0xcf800000, v3
	v_cvt_u32_f32_e32 v3, v3
	v_cvt_u32_f32_e32 v1, v1
	v_mul_lo_u32 v6, s2, v3
	v_mul_hi_u32 v8, s2, v1
	v_mul_lo_u32 v7, s3, v1
	v_add_u32_e32 v8, v8, v6
	v_mul_lo_u32 v10, s2, v1
	v_add_u32_e32 v11, v8, v7
	v_mul_hi_u32 v6, v1, v10
	v_mul_hi_u32 v9, v1, v11
	v_mul_lo_u32 v8, v1, v11
	v_mov_b32_e32 v7, v2
	v_lshl_add_u64 v[6:7], v[6:7], 0, v[8:9]
	v_mul_hi_u32 v9, v3, v10
	v_mul_lo_u32 v10, v3, v10
	v_add_co_u32_e32 v6, vcc, v6, v10
	v_mul_hi_u32 v8, v3, v11
	s_nop 0
	v_addc_co_u32_e32 v6, vcc, v7, v9, vcc
	v_mov_b32_e32 v7, v2
	s_nop 0
	v_addc_co_u32_e32 v9, vcc, 0, v8, vcc
	v_mul_lo_u32 v8, v3, v11
	v_lshl_add_u64 v[6:7], v[6:7], 0, v[8:9]
	v_add_co_u32_e32 v1, vcc, v1, v6
	v_mul_lo_u32 v8, s2, v1
	s_nop 0
	v_addc_co_u32_e32 v3, vcc, v3, v7, vcc
	v_mul_lo_u32 v6, s2, v3
	v_mul_hi_u32 v7, s2, v1
	v_add_u32_e32 v6, v7, v6
	v_mul_lo_u32 v7, s3, v1
	v_add_u32_e32 v10, v6, v7
	v_mul_hi_u32 v12, v3, v8
	v_mul_lo_u32 v13, v3, v8
	v_mul_hi_u32 v7, v1, v10
	v_mul_lo_u32 v6, v1, v10
	v_mul_hi_u32 v8, v1, v8
	v_mov_b32_e32 v9, v2
	v_lshl_add_u64 v[6:7], v[8:9], 0, v[6:7]
	v_add_co_u32_e32 v6, vcc, v6, v13
	v_mul_hi_u32 v11, v3, v10
	s_nop 0
	v_addc_co_u32_e32 v6, vcc, v7, v12, vcc
	v_mul_lo_u32 v8, v3, v10
	s_nop 0
	v_addc_co_u32_e32 v9, vcc, 0, v11, vcc
	v_mov_b32_e32 v7, v2
	v_lshl_add_u64 v[6:7], v[6:7], 0, v[8:9]
	v_add_co_u32_e32 v1, vcc, v1, v6
	v_mul_hi_u32 v8, v4, v1
	s_nop 0
	v_addc_co_u32_e32 v3, vcc, v3, v7, vcc
	v_mad_u64_u32 v[6:7], s[2:3], v4, v3, 0
	v_mov_b32_e32 v9, v2
	v_lshl_add_u64 v[6:7], v[8:9], 0, v[6:7]
	v_mad_u64_u32 v[10:11], s[2:3], v5, v1, 0
	v_add_co_u32_e32 v1, vcc, v6, v10
	v_mad_u64_u32 v[8:9], s[2:3], v5, v3, 0
	s_nop 0
	v_addc_co_u32_e32 v6, vcc, v7, v11, vcc
	v_mov_b32_e32 v7, v2
	s_nop 0
	v_addc_co_u32_e32 v9, vcc, 0, v9, vcc
	v_lshl_add_u64 v[6:7], v[6:7], 0, v[8:9]
	v_mul_lo_u32 v1, s25, v6
	v_mul_lo_u32 v3, s24, v7
	v_mad_u64_u32 v[8:9], s[2:3], s24, v6, 0
	v_add3_u32 v1, v9, v3, v1
	v_sub_u32_e32 v3, v5, v1
	v_mov_b32_e32 v9, s25
	v_sub_co_u32_e32 v12, vcc, v4, v8
	v_lshl_add_u64 v[10:11], v[6:7], 0, 1
	s_nop 0
	v_subb_co_u32_e64 v3, s[2:3], v3, v9, vcc
	v_subrev_co_u32_e64 v8, s[2:3], s24, v12
	v_subb_co_u32_e32 v1, vcc, v5, v1, vcc
	s_nop 0
	v_subbrev_co_u32_e64 v3, s[2:3], 0, v3, s[2:3]
	v_cmp_le_u32_e64 s[2:3], s25, v3
	v_cmp_le_u32_e32 vcc, s25, v1
	s_nop 0
	v_cndmask_b32_e64 v9, 0, -1, s[2:3]
	v_cmp_le_u32_e64 s[2:3], s24, v8
	s_nop 1
	v_cndmask_b32_e64 v8, 0, -1, s[2:3]
	v_cmp_eq_u32_e64 s[2:3], s25, v3
	s_nop 1
	v_cndmask_b32_e64 v3, v9, v8, s[2:3]
	v_lshl_add_u64 v[8:9], v[6:7], 0, 2
	v_cmp_ne_u32_e64 s[2:3], 0, v3
	s_nop 1
	v_cndmask_b32_e64 v3, v11, v9, s[2:3]
	v_cndmask_b32_e64 v9, 0, -1, vcc
	v_cmp_le_u32_e32 vcc, s24, v12
	s_nop 1
	v_cndmask_b32_e64 v11, 0, -1, vcc
	v_cmp_eq_u32_e32 vcc, s25, v1
	s_nop 1
	v_cndmask_b32_e32 v1, v9, v11, vcc
	v_cmp_ne_u32_e32 vcc, 0, v1
	v_cndmask_b32_e64 v1, v10, v8, s[2:3]
	s_nop 0
	v_cndmask_b32_e32 v55, v7, v3, vcc
	v_cndmask_b32_e32 v54, v6, v1, vcc
.LBB0_4:                                ;   in Loop: Header=BB0_2 Depth=1
	s_andn2_saveexec_b64 s[2:3], s[26:27]
	s_cbranch_execz .LBB0_6
; %bb.5:                                ;   in Loop: Header=BB0_2 Depth=1
	v_cvt_f32_u32_e32 v1, s24
	s_sub_i32 s26, 0, s24
	v_mov_b32_e32 v55, v2
	v_rcp_iflag_f32_e32 v1, v1
	s_nop 0
	v_mul_f32_e32 v1, 0x4f7ffffe, v1
	v_cvt_u32_f32_e32 v1, v1
	v_mul_lo_u32 v3, s26, v1
	v_mul_hi_u32 v3, v1, v3
	v_add_u32_e32 v1, v1, v3
	v_mul_hi_u32 v1, v4, v1
	v_mul_lo_u32 v3, v1, s24
	v_sub_u32_e32 v3, v4, v3
	v_add_u32_e32 v6, 1, v1
	v_subrev_u32_e32 v7, s24, v3
	v_cmp_le_u32_e32 vcc, s24, v3
	s_nop 1
	v_cndmask_b32_e32 v3, v3, v7, vcc
	v_cndmask_b32_e32 v1, v1, v6, vcc
	v_add_u32_e32 v6, 1, v1
	v_cmp_le_u32_e32 vcc, s24, v3
	s_nop 1
	v_cndmask_b32_e32 v54, v1, v6, vcc
.LBB0_6:                                ;   in Loop: Header=BB0_2 Depth=1
	s_or_b64 exec, exec, s[2:3]
	v_mad_u64_u32 v[6:7], s[2:3], v54, s24, 0
	s_load_dwordx2 s[2:3], s[18:19], 0x0
	v_mul_lo_u32 v1, v55, s24
	v_mul_lo_u32 v3, v54, s25
	s_load_dwordx2 s[24:25], s[16:17], 0x0
	s_add_u32 s22, s22, 1
	v_add3_u32 v1, v7, v3, v1
	v_sub_co_u32_e32 v3, vcc, v4, v6
	s_addc_u32 s23, s23, 0
	s_nop 0
	v_subb_co_u32_e32 v1, vcc, v5, v1, vcc
	s_add_u32 s16, s16, 8
	s_waitcnt lgkmcnt(0)
	v_mul_lo_u32 v4, s2, v1
	v_mul_lo_u32 v5, s3, v3
	v_mad_u64_u32 v[62:63], s[2:3], s2, v3, v[62:63]
	s_addc_u32 s17, s17, 0
	v_add3_u32 v63, v5, v63, v4
	v_mul_lo_u32 v1, s24, v1
	v_mul_lo_u32 v4, s25, v3
	v_mad_u64_u32 v[52:53], s[2:3], s24, v3, v[52:53]
	s_add_u32 s18, s18, 8
	v_add3_u32 v53, v4, v53, v1
	s_addc_u32 s19, s19, 0
	v_mov_b64_e32 v[4:5], s[10:11]
	s_add_u32 s20, s20, 8
	v_cmp_ge_u64_e32 vcc, s[22:23], v[4:5]
	s_addc_u32 s21, s21, 0
	s_cbranch_vccnz .LBB0_8
; %bb.7:                                ;   in Loop: Header=BB0_2 Depth=1
	v_mov_b64_e32 v[4:5], v[54:55]
	s_branch .LBB0_2
.LBB0_8:
	s_load_dwordx2 s[0:1], s[0:1], 0x28
	s_lshl_b64 s[16:17], s[10:11], 3
	s_add_u32 s2, s14, s16
	s_addc_u32 s3, s15, s17
	s_load_dwordx2 s[2:3], s[2:3], 0x0
	s_waitcnt lgkmcnt(0)
	v_cmp_gt_u64_e32 vcc, s[0:1], v[54:55]
	s_mov_b32 s0, 0x13b13b14
	v_mul_hi_u32 v1, v0, s0
	v_mul_u32_u24_e32 v1, 13, v1
	v_sub_u32_e32 v58, v0, v1
	v_mov_b32_e32 v56, 0
                                        ; implicit-def: $vgpr50_vgpr51
                                        ; implicit-def: $vgpr46_vgpr47
                                        ; implicit-def: $vgpr42_vgpr43
                                        ; implicit-def: $vgpr38_vgpr39
                                        ; implicit-def: $vgpr34_vgpr35
                                        ; implicit-def: $vgpr30_vgpr31
                                        ; implicit-def: $vgpr26_vgpr27
                                        ; implicit-def: $vgpr22_vgpr23
                                        ; implicit-def: $vgpr18_vgpr19
                                        ; implicit-def: $vgpr14_vgpr15
                                        ; implicit-def: $vgpr10_vgpr11
                                        ; implicit-def: $vgpr6_vgpr7
                                        ; implicit-def: $vgpr2_vgpr3
	s_and_saveexec_b64 s[10:11], vcc
	s_cbranch_execz .LBB0_12
; %bb.9:
	v_cmp_gt_u32_e64 s[0:1], 11, v58
                                        ; implicit-def: $vgpr0_vgpr1
                                        ; implicit-def: $vgpr4_vgpr5
                                        ; implicit-def: $vgpr8_vgpr9
                                        ; implicit-def: $vgpr12_vgpr13
                                        ; implicit-def: $vgpr16_vgpr17
                                        ; implicit-def: $vgpr20_vgpr21
                                        ; implicit-def: $vgpr24_vgpr25
                                        ; implicit-def: $vgpr28_vgpr29
                                        ; implicit-def: $vgpr32_vgpr33
                                        ; implicit-def: $vgpr36_vgpr37
                                        ; implicit-def: $vgpr40_vgpr41
                                        ; implicit-def: $vgpr44_vgpr45
                                        ; implicit-def: $vgpr48_vgpr49
	s_and_saveexec_b64 s[14:15], s[0:1]
	s_cbranch_execz .LBB0_11
; %bb.10:
	s_add_u32 s0, s12, s16
	s_addc_u32 s1, s13, s17
	s_load_dwordx2 s[0:1], s[0:1], 0x0
	v_mov_b32_e32 v59, 0
	s_waitcnt lgkmcnt(0)
	v_mul_lo_u32 v2, s1, v54
	v_mul_lo_u32 v3, s0, v55
	v_mad_u64_u32 v[0:1], s[0:1], s0, v54, 0
	v_add3_u32 v1, v1, v3, v2
	v_lshl_add_u64 v[0:1], v[0:1], 4, s[4:5]
	v_lshl_add_u64 v[0:1], v[62:63], 4, v[0:1]
	;; [unrolled: 1-line block ×3, first 2 shown]
	global_load_dwordx4 v[0:3], v[56:57], off
	global_load_dwordx4 v[4:7], v[56:57], off offset:176
	global_load_dwordx4 v[8:11], v[56:57], off offset:352
	global_load_dwordx4 v[12:15], v[56:57], off offset:528
	global_load_dwordx4 v[16:19], v[56:57], off offset:704
	global_load_dwordx4 v[20:23], v[56:57], off offset:880
	global_load_dwordx4 v[24:27], v[56:57], off offset:1056
	global_load_dwordx4 v[28:31], v[56:57], off offset:1232
	global_load_dwordx4 v[32:35], v[56:57], off offset:1408
	global_load_dwordx4 v[36:39], v[56:57], off offset:1584
	global_load_dwordx4 v[40:43], v[56:57], off offset:1760
	global_load_dwordx4 v[44:47], v[56:57], off offset:1936
	global_load_dwordx4 v[48:51], v[56:57], off offset:2112
.LBB0_11:
	s_or_b64 exec, exec, s[14:15]
	v_mov_b32_e32 v56, v58
.LBB0_12:
	s_or_b64 exec, exec, s[10:11]
	v_lshrrev_b32_e32 v57, 1, v60
	s_mov_b32 s0, 0x92492493
	v_mul_hi_u32 v57, v57, s0
	v_lshrrev_b32_e32 v57, 2, v57
	v_mul_lo_u32 v57, v57, 14
	v_sub_u32_e32 v57, v60, v57
	v_mul_u32_u24_e32 v57, 0x8f, v57
	v_cmp_gt_u32_e64 s[0:1], 11, v58
	s_and_saveexec_b64 s[4:5], s[0:1]
	s_cbranch_execz .LBB0_14
; %bb.13:
	s_waitcnt vmcnt(11)
	v_add_f64 v[60:61], v[6:7], v[2:3]
	s_waitcnt vmcnt(10)
	v_add_f64 v[60:61], v[10:11], v[60:61]
	;; [unrolled: 2-line block ×6, first 2 shown]
	v_add_f64 v[60:61], v[4:5], v[0:1]
	v_add_f64 v[60:61], v[8:9], v[60:61]
	;; [unrolled: 1-line block ×6, first 2 shown]
	s_waitcnt vmcnt(5)
	v_add_f64 v[68:69], v[24:25], -v[28:29]
	v_add_f64 v[66:67], v[28:29], v[24:25]
	v_add_f64 v[24:25], v[30:31], v[64:65]
	;; [unrolled: 1-line block ×3, first 2 shown]
	v_add_f64 v[60:61], v[26:27], -v[30:31]
	v_add_f64 v[26:27], v[28:29], v[70:71]
	s_waitcnt vmcnt(4)
	v_add_f64 v[74:75], v[20:21], -v[32:33]
	v_add_f64 v[70:71], v[32:33], v[20:21]
	v_add_f64 v[20:21], v[34:35], v[24:25]
	v_add_f64 v[64:65], v[34:35], v[22:23]
	v_add_f64 v[28:29], v[22:23], -v[34:35]
	v_add_f64 v[22:23], v[32:33], v[26:27]
	s_waitcnt vmcnt(3)
	v_add_f64 v[78:79], v[16:17], -v[36:37]
	v_add_f64 v[72:73], v[36:37], v[16:17]
	v_add_f64 v[16:17], v[38:39], v[20:21]
	s_mov_b32 s0, 0x4bc48dbf
	v_add_f64 v[34:35], v[38:39], v[18:19]
	v_add_f64 v[30:31], v[18:19], -v[38:39]
	v_add_f64 v[18:19], v[36:37], v[22:23]
	s_waitcnt vmcnt(2)
	v_add_f64 v[82:83], v[12:13], -v[40:41]
	v_add_f64 v[76:77], v[40:41], v[12:13]
	v_add_f64 v[12:13], v[42:43], v[16:17]
	s_waitcnt vmcnt(0)
	v_add_f64 v[86:87], v[4:5], -v[48:49]
	s_mov_b32 s24, 0x4267c47c
	s_mov_b32 s1, 0xbfcea1e5
	;; [unrolled: 1-line block ×3, first 2 shown]
	v_add_f64 v[38:39], v[42:43], v[14:15]
	v_add_f64 v[32:33], v[14:15], -v[42:43]
	v_add_f64 v[14:15], v[40:41], v[18:19]
	v_add_f64 v[84:85], v[8:9], -v[44:45]
	v_add_f64 v[80:81], v[44:45], v[8:9]
	v_add_f64 v[8:9], v[46:47], v[12:13]
	;; [unrolled: 1-line block ×3, first 2 shown]
	s_mov_b32 s25, 0x3fddbe06
	s_mov_b32 s14, 0xe00740e9
	;; [unrolled: 1-line block ×3, first 2 shown]
	v_mul_f64 v[12:13], v[86:87], s[0:1]
	s_mov_b32 s10, 0x24c2f84
	v_add_f64 v[40:41], v[46:47], v[10:11]
	v_add_f64 v[36:37], v[10:11], -v[46:47]
	v_add_f64 v[10:11], v[44:45], v[14:15]
	v_add_f64 v[44:45], v[6:7], -v[50:51]
	v_add_f64 v[6:7], v[50:51], v[8:9]
	s_mov_b32 s15, 0x3fec55a7
	v_fma_f64 v[8:9], s[12:13], v[42:43], v[12:13]
	v_mul_f64 v[14:15], v[84:85], s[24:25]
	s_mov_b32 s11, 0xbfe5384d
	s_mov_b32 s18, 0xd0032e0c
	;; [unrolled: 1-line block ×3, first 2 shown]
	v_add_f64 v[46:47], v[48:49], v[4:5]
	v_add_f64 v[4:5], v[48:49], v[10:11]
	;; [unrolled: 1-line block ×3, first 2 shown]
	v_fma_f64 v[10:11], s[14:15], v[40:41], v[14:15]
	s_mov_b32 s19, 0xbfe7f3cc
	v_mul_f64 v[16:17], v[82:83], s[10:11]
	s_mov_b32 s35, 0x3fea55e2
	s_mov_b32 s20, 0x1ea71119
	;; [unrolled: 1-line block ×3, first 2 shown]
	v_add_f64 v[8:9], v[10:11], v[8:9]
	v_fma_f64 v[10:11], s[18:19], v[38:39], v[16:17]
	s_mov_b32 s21, 0x3fe22d96
	v_mul_f64 v[18:19], v[78:79], s[34:35]
	s_mov_b32 s17, 0xbfedeba7
	s_mov_b32 s22, 0xb2365da1
	v_add_f64 v[8:9], v[10:11], v[8:9]
	v_fma_f64 v[10:11], s[20:21], v[34:35], v[18:19]
	s_mov_b32 s23, 0xbfd6b1d8
	v_mul_f64 v[20:21], v[74:75], s[16:17]
	v_add_f64 v[8:9], v[10:11], v[8:9]
	v_fma_f64 v[10:11], s[22:23], v[64:65], v[20:21]
	s_mov_b32 s31, 0x3fcea1e5
	s_mov_b32 s30, s0
	v_mul_f64 v[22:23], v[46:47], s[12:13]
	v_add_f64 v[8:9], v[10:11], v[8:9]
	s_mov_b32 s29, 0xbfddbe06
	s_mov_b32 s28, s24
	v_fma_f64 v[10:11], s[30:31], v[44:45], v[22:23]
	v_mul_f64 v[24:25], v[80:81], s[14:15]
	v_fma_f64 v[12:13], v[42:43], s[12:13], -v[12:13]
	v_add_f64 v[10:11], v[0:1], v[10:11]
	v_fma_f64 v[26:27], s[28:29], v[36:37], v[24:25]
	v_fma_f64 v[14:15], v[40:41], s[14:15], -v[14:15]
	v_add_f64 v[12:13], v[2:3], v[12:13]
	v_add_f64 v[10:11], v[26:27], v[10:11]
	s_mov_b32 s39, 0x3fe5384d
	s_mov_b32 s38, s10
	v_mul_f64 v[26:27], v[76:77], s[18:19]
	v_add_f64 v[12:13], v[14:15], v[12:13]
	v_fma_f64 v[14:15], v[38:39], s[18:19], -v[16:17]
	v_fma_f64 v[48:49], s[38:39], v[32:33], v[26:27]
	v_add_f64 v[12:13], v[14:15], v[12:13]
	v_fma_f64 v[14:15], v[34:35], s[20:21], -v[18:19]
	v_add_f64 v[10:11], v[48:49], v[10:11]
	s_mov_b32 s27, 0xbfea55e2
	s_mov_b32 s26, s34
	v_mul_f64 v[48:49], v[72:73], s[20:21]
	v_add_f64 v[12:13], v[14:15], v[12:13]
	v_fma_f64 v[14:15], v[64:65], s[22:23], -v[20:21]
	v_fmac_f64_e32 v[22:23], s[0:1], v[44:45]
	v_fma_f64 v[50:51], s[26:27], v[30:31], v[48:49]
	s_mov_b32 s44, 0x66966769
	v_add_f64 v[12:13], v[14:15], v[12:13]
	v_fmac_f64_e32 v[24:25], s[24:25], v[36:37]
	v_add_f64 v[14:15], v[0:1], v[22:23]
	v_add_f64 v[10:11], v[50:51], v[10:11]
	s_mov_b32 s43, 0x3fedeba7
	s_mov_b32 s42, s16
	v_mul_f64 v[50:51], v[70:71], s[22:23]
	s_mov_b32 s45, 0x3fefc445
	s_mov_b32 s40, 0xebaa3ed8
	v_add_f64 v[14:15], v[24:25], v[14:15]
	v_fmac_f64_e32 v[26:27], s[10:11], v[32:33]
	v_fma_f64 v[88:89], s[42:43], v[28:29], v[50:51]
	s_mov_b32 s41, 0x3fbedb7d
	v_mul_f64 v[90:91], v[68:69], s[44:45]
	v_add_f64 v[14:15], v[26:27], v[14:15]
	v_fmac_f64_e32 v[48:49], s[34:35], v[30:31]
	v_add_f64 v[88:89], v[88:89], v[10:11]
	v_fma_f64 v[10:11], s[40:41], v[62:63], v[90:91]
	s_mov_b32 s37, 0xbfefc445
	s_mov_b32 s36, s44
	v_mul_f64 v[92:93], v[66:67], s[40:41]
	v_add_f64 v[14:15], v[48:49], v[14:15]
	v_fmac_f64_e32 v[50:51], s[16:17], v[28:29]
	v_add_f64 v[10:11], v[10:11], v[8:9]
	v_fma_f64 v[8:9], s[36:37], v[60:61], v[92:93]
	v_add_f64 v[16:17], v[50:51], v[14:15]
	v_fma_f64 v[14:15], v[62:63], s[40:41], -v[90:91]
	v_fmac_f64_e32 v[92:93], s[44:45], v[60:61]
	v_mul_f64 v[20:21], v[86:87], s[10:11]
	v_add_f64 v[14:15], v[14:15], v[12:13]
	v_add_f64 v[12:13], v[92:93], v[16:17]
	v_fma_f64 v[16:17], s[18:19], v[42:43], v[20:21]
	v_mul_f64 v[22:23], v[84:85], s[44:45]
	v_add_f64 v[16:17], v[2:3], v[16:17]
	v_fma_f64 v[18:19], s[40:41], v[40:41], v[22:23]
	v_mul_f64 v[24:25], v[82:83], s[26:27]
	v_add_f64 v[16:17], v[18:19], v[16:17]
	v_fma_f64 v[18:19], s[20:21], v[38:39], v[24:25]
	v_mul_f64 v[26:27], v[78:79], s[30:31]
	v_add_f64 v[16:17], v[18:19], v[16:17]
	v_fma_f64 v[18:19], s[12:13], v[34:35], v[26:27]
	v_mul_f64 v[48:49], v[74:75], s[24:25]
	v_add_f64 v[16:17], v[18:19], v[16:17]
	v_fma_f64 v[18:19], s[14:15], v[64:65], v[48:49]
	v_mul_f64 v[50:51], v[46:47], s[18:19]
	v_add_f64 v[8:9], v[8:9], v[88:89]
	v_add_f64 v[16:17], v[18:19], v[16:17]
	v_fma_f64 v[18:19], s[38:39], v[44:45], v[50:51]
	v_mul_f64 v[88:89], v[80:81], s[40:41]
	v_fma_f64 v[20:21], v[42:43], s[18:19], -v[20:21]
	v_add_f64 v[18:19], v[0:1], v[18:19]
	v_fma_f64 v[90:91], s[36:37], v[36:37], v[88:89]
	v_fma_f64 v[22:23], v[40:41], s[40:41], -v[22:23]
	v_add_f64 v[20:21], v[2:3], v[20:21]
	v_add_f64 v[18:19], v[90:91], v[18:19]
	v_mul_f64 v[90:91], v[76:77], s[20:21]
	v_add_f64 v[20:21], v[22:23], v[20:21]
	v_fma_f64 v[22:23], v[38:39], s[20:21], -v[24:25]
	v_fma_f64 v[92:93], s[34:35], v[32:33], v[90:91]
	v_add_f64 v[20:21], v[22:23], v[20:21]
	v_fma_f64 v[22:23], v[34:35], s[12:13], -v[26:27]
	v_add_f64 v[18:19], v[92:93], v[18:19]
	v_mul_f64 v[92:93], v[72:73], s[12:13]
	v_add_f64 v[20:21], v[22:23], v[20:21]
	v_fma_f64 v[22:23], v[64:65], s[14:15], -v[48:49]
	v_fmac_f64_e32 v[50:51], s[10:11], v[44:45]
	v_fma_f64 v[94:95], s[0:1], v[30:31], v[92:93]
	v_add_f64 v[20:21], v[22:23], v[20:21]
	v_fmac_f64_e32 v[88:89], s[44:45], v[36:37]
	v_add_f64 v[22:23], v[0:1], v[50:51]
	v_add_f64 v[18:19], v[94:95], v[18:19]
	v_mul_f64 v[94:95], v[70:71], s[14:15]
	v_add_f64 v[22:23], v[88:89], v[22:23]
	v_fmac_f64_e32 v[90:91], s[26:27], v[32:33]
	v_fma_f64 v[96:97], s[28:29], v[28:29], v[94:95]
	v_mul_f64 v[98:99], v[68:69], s[16:17]
	v_add_f64 v[22:23], v[90:91], v[22:23]
	v_fmac_f64_e32 v[92:93], s[30:31], v[30:31]
	v_add_f64 v[96:97], v[96:97], v[18:19]
	v_fma_f64 v[18:19], s[22:23], v[62:63], v[98:99]
	v_mul_f64 v[100:101], v[66:67], s[22:23]
	v_add_f64 v[22:23], v[92:93], v[22:23]
	v_fmac_f64_e32 v[94:95], s[24:25], v[28:29]
	v_add_f64 v[18:19], v[18:19], v[16:17]
	v_fma_f64 v[16:17], s[42:43], v[60:61], v[100:101]
	v_add_f64 v[24:25], v[94:95], v[22:23]
	v_fma_f64 v[22:23], v[62:63], s[22:23], -v[98:99]
	v_fmac_f64_e32 v[100:101], s[16:17], v[60:61]
	v_mul_f64 v[48:49], v[86:87], s[16:17]
	v_add_f64 v[22:23], v[22:23], v[20:21]
	v_add_f64 v[20:21], v[100:101], v[24:25]
	v_fma_f64 v[24:25], s[22:23], v[42:43], v[48:49]
	v_mul_f64 v[50:51], v[84:85], s[38:39]
	v_add_f64 v[24:25], v[2:3], v[24:25]
	v_fma_f64 v[26:27], s[18:19], v[40:41], v[50:51]
	v_mul_f64 v[88:89], v[82:83], s[24:25]
	v_add_f64 v[24:25], v[26:27], v[24:25]
	v_fma_f64 v[26:27], s[14:15], v[38:39], v[88:89]
	v_mul_f64 v[90:91], v[78:79], s[36:37]
	v_add_f64 v[24:25], v[26:27], v[24:25]
	v_fma_f64 v[26:27], s[40:41], v[34:35], v[90:91]
	v_mul_f64 v[92:93], v[74:75], s[30:31]
	v_add_f64 v[24:25], v[26:27], v[24:25]
	v_fma_f64 v[26:27], s[12:13], v[64:65], v[92:93]
	v_mul_f64 v[94:95], v[46:47], s[22:23]
	v_add_f64 v[16:17], v[16:17], v[96:97]
	v_add_f64 v[24:25], v[26:27], v[24:25]
	v_fma_f64 v[26:27], s[42:43], v[44:45], v[94:95]
	v_mul_f64 v[96:97], v[80:81], s[18:19]
	v_fma_f64 v[48:49], v[42:43], s[22:23], -v[48:49]
	v_add_f64 v[26:27], v[0:1], v[26:27]
	v_fma_f64 v[98:99], s[10:11], v[36:37], v[96:97]
	v_fma_f64 v[50:51], v[40:41], s[18:19], -v[50:51]
	v_add_f64 v[48:49], v[2:3], v[48:49]
	v_add_f64 v[26:27], v[98:99], v[26:27]
	v_mul_f64 v[98:99], v[76:77], s[14:15]
	v_add_f64 v[48:49], v[50:51], v[48:49]
	v_fma_f64 v[50:51], v[38:39], s[14:15], -v[88:89]
	v_fma_f64 v[100:101], s[28:29], v[32:33], v[98:99]
	v_add_f64 v[48:49], v[50:51], v[48:49]
	v_fma_f64 v[50:51], v[34:35], s[40:41], -v[90:91]
	v_add_f64 v[26:27], v[100:101], v[26:27]
	v_mul_f64 v[100:101], v[72:73], s[40:41]
	v_add_f64 v[48:49], v[50:51], v[48:49]
	v_fma_f64 v[50:51], v[64:65], s[12:13], -v[92:93]
	v_fmac_f64_e32 v[94:95], s[16:17], v[44:45]
	v_fma_f64 v[102:103], s[44:45], v[30:31], v[100:101]
	v_add_f64 v[48:49], v[50:51], v[48:49]
	v_fmac_f64_e32 v[96:97], s[38:39], v[36:37]
	v_add_f64 v[50:51], v[0:1], v[94:95]
	v_add_f64 v[26:27], v[102:103], v[26:27]
	v_mul_f64 v[102:103], v[70:71], s[12:13]
	v_add_f64 v[50:51], v[96:97], v[50:51]
	v_fmac_f64_e32 v[98:99], s[24:25], v[32:33]
	v_fma_f64 v[104:105], s[0:1], v[28:29], v[102:103]
	v_mul_f64 v[106:107], v[68:69], s[34:35]
	v_add_f64 v[50:51], v[98:99], v[50:51]
	v_fmac_f64_e32 v[100:101], s[36:37], v[30:31]
	v_add_f64 v[104:105], v[104:105], v[26:27]
	v_fma_f64 v[26:27], s[20:21], v[62:63], v[106:107]
	;; [unrolled: 60-line block ×4, first 2 shown]
	v_mul_f64 v[124:125], v[66:67], s[14:15]
	v_add_f64 v[102:103], v[116:117], v[102:103]
	v_fmac_f64_e32 v[118:119], s[44:45], v[28:29]
	v_add_f64 v[98:99], v[98:99], v[96:97]
	v_fma_f64 v[96:97], s[28:29], v[60:61], v[124:125]
	v_add_f64 v[104:105], v[118:119], v[102:103]
	v_fma_f64 v[102:103], v[62:63], s[14:15], -v[122:123]
	v_fmac_f64_e32 v[124:125], s[24:25], v[60:61]
	v_mul_f64 v[86:87], v[86:87], s[28:29]
	v_add_f64 v[102:103], v[102:103], v[100:101]
	v_add_f64 v[100:101], v[124:125], v[104:105]
	v_mul_f64 v[84:85], v[84:85], s[26:27]
	v_fma_f64 v[104:105], s[14:15], v[42:43], v[86:87]
	v_add_f64 v[104:105], v[2:3], v[104:105]
	v_fma_f64 v[106:107], s[20:21], v[40:41], v[84:85]
	v_mul_f64 v[82:83], v[82:83], s[36:37]
	v_add_f64 v[104:105], v[106:107], v[104:105]
	v_fma_f64 v[106:107], s[40:41], v[38:39], v[82:83]
	v_mul_f64 v[78:79], v[78:79], s[16:17]
	;; [unrolled: 3-line block ×4, first 2 shown]
	v_add_f64 v[104:105], v[106:107], v[104:105]
	v_mul_f64 v[80:81], v[80:81], s[20:21]
	v_fma_f64 v[106:107], s[24:25], v[44:45], v[46:47]
	v_add_f64 v[106:107], v[0:1], v[106:107]
	v_fma_f64 v[108:109], s[34:35], v[36:37], v[80:81]
	v_mul_f64 v[76:77], v[76:77], s[40:41]
	v_add_f64 v[106:107], v[108:109], v[106:107]
	v_fma_f64 v[108:109], s[44:45], v[32:33], v[76:77]
	v_mul_f64 v[72:73], v[72:73], s[22:23]
	;; [unrolled: 3-line block ×3, first 2 shown]
	v_fma_f64 v[42:43], v[42:43], s[14:15], -v[86:87]
	v_fmac_f64_e32 v[46:47], s[28:29], v[44:45]
	v_add_f64 v[106:107], v[108:109], v[106:107]
	v_fma_f64 v[108:109], s[38:39], v[28:29], v[70:71]
	v_add_f64 v[2:3], v[2:3], v[42:43]
	v_add_f64 v[0:1], v[0:1], v[46:47]
	v_fma_f64 v[40:41], v[40:41], s[20:21], -v[84:85]
	v_fmac_f64_e32 v[80:81], s[26:27], v[36:37]
	v_add_f64 v[106:107], v[108:109], v[106:107]
	v_mul_f64 v[108:109], v[68:69], s[0:1]
	v_fma_f64 v[38:39], v[38:39], s[40:41], -v[82:83]
	v_add_f64 v[2:3], v[40:41], v[2:3]
	v_fmac_f64_e32 v[76:77], s[36:37], v[32:33]
	v_add_f64 v[0:1], v[80:81], v[0:1]
	v_fma_f64 v[68:69], s[12:13], v[62:63], v[108:109]
	v_fma_f64 v[34:35], v[34:35], s[22:23], -v[78:79]
	v_add_f64 v[2:3], v[38:39], v[2:3]
	v_fmac_f64_e32 v[72:73], s[16:17], v[30:31]
	v_add_f64 v[0:1], v[76:77], v[0:1]
	v_add_f64 v[68:69], v[68:69], v[104:105]
	v_mul_f64 v[104:105], v[66:67], s[12:13]
	v_fma_f64 v[44:45], v[64:65], s[18:19], -v[74:75]
	v_add_f64 v[2:3], v[34:35], v[2:3]
	v_fmac_f64_e32 v[70:71], s[10:11], v[28:29]
	v_add_f64 v[0:1], v[72:73], v[0:1]
	v_mul_u32_u24_e32 v28, 0xd0, v58
	v_lshlrev_b32_e32 v29, 4, v57
	v_fma_f64 v[66:67], s[30:31], v[60:61], v[104:105]
	v_fma_f64 v[42:43], v[62:63], s[12:13], -v[108:109]
	v_add_f64 v[2:3], v[44:45], v[2:3]
	v_fmac_f64_e32 v[104:105], s[0:1], v[60:61]
	v_add_f64 v[0:1], v[70:71], v[0:1]
	v_add3_u32 v28, 0, v28, v29
	v_add_f64 v[96:97], v[96:97], v[120:121]
	v_add_f64 v[66:67], v[66:67], v[106:107]
	;; [unrolled: 1-line block ×4, first 2 shown]
	ds_write_b128 v28, v[4:7]
	ds_write_b128 v28, v[0:3] offset:16
	ds_write_b128 v28, v[100:103] offset:32
	;; [unrolled: 1-line block ×12, first 2 shown]
.LBB0_14:
	s_or_b64 exec, exec, s[4:5]
	s_waitcnt lgkmcnt(0)
	s_barrier
	s_and_saveexec_b64 s[0:1], vcc
	s_cbranch_execz .LBB0_16
; %bb.15:
	s_waitcnt vmcnt(12)
	v_mul_u32_u24_e32 v0, 10, v58
	s_waitcnt vmcnt(6)
	v_lshlrev_b32_e32 v24, 4, v0
	global_load_dwordx4 v[4:7], v24, s[8:9] offset:64
	global_load_dwordx4 v[0:3], v24, s[8:9] offset:80
	;; [unrolled: 1-line block ×8, first 2 shown]
	global_load_dwordx4 v[74:77], v24, s[8:9]
	global_load_dwordx4 v[86:89], v24, s[8:9] offset:144
	v_lshlrev_b32_e32 v98, 4, v58
	v_lshlrev_b32_e32 v57, 4, v57
	v_add3_u32 v24, 0, v98, v57
	s_waitcnt vmcnt(12)
	ds_read_b128 v[40:43], v24 offset:1040
	s_waitcnt vmcnt(11)
	ds_read_b128 v[44:47], v24 offset:1248
	;; [unrolled: 2-line block ×3, first 2 shown]
	ds_read_b128 v[68:71], v24 offset:624
	ds_read_b128 v[78:81], v24 offset:1456
	;; [unrolled: 1-line block ×7, first 2 shown]
	s_mov_b32 s22, 0xfd768dbf
	s_mov_b32 s18, 0xf8bb580b
	;; [unrolled: 1-line block ×26, first 2 shown]
	s_waitcnt vmcnt(9) lgkmcnt(9)
	v_mul_f64 v[24:25], v[6:7], v[42:43]
	v_mul_f64 v[6:7], v[40:41], v[6:7]
	s_waitcnt vmcnt(8) lgkmcnt(8)
	v_mul_f64 v[26:27], v[2:3], v[46:47]
	v_mul_f64 v[2:3], v[44:45], v[2:3]
	;; [unrolled: 3-line block ×4, first 2 shown]
	s_waitcnt vmcnt(3) lgkmcnt(3)
	v_mul_f64 v[38:39], v[62:63], v[92:93]
	s_waitcnt vmcnt(2) lgkmcnt(1)
	v_mul_f64 v[34:35], v[66:67], v[96:97]
	v_mul_f64 v[62:63], v[90:91], v[62:63]
	;; [unrolled: 1-line block ×3, first 2 shown]
	v_fmac_f64_e32 v[24:25], v[4:5], v[40:41]
	v_fma_f64 v[40:41], v[4:5], v[42:43], -v[6:7]
	v_add3_u32 v4, 0, v57, v98
	v_fma_f64 v[42:43], v[0:1], v[46:47], -v[2:3]
	v_fmac_f64_e32 v[30:31], v[8:9], v[48:49]
	v_fma_f64 v[46:47], v[8:9], v[50:51], -v[10:11]
	v_fma_f64 v[48:49], v[20:21], v[84:85], -v[22:23]
	v_fmac_f64_e32 v[38:39], v[60:61], v[90:91]
	v_fmac_f64_e32 v[34:35], v[64:65], v[94:95]
	v_fma_f64 v[60:61], v[60:61], v[92:93], -v[62:63]
	v_fma_f64 v[50:51], v[64:65], v[96:97], -v[66:67]
	ds_read_b128 v[4:7], v4
	s_waitcnt vmcnt(1)
	v_mul_f64 v[62:63], v[76:77], v[104:105]
	s_waitcnt vmcnt(0) lgkmcnt(1)
	v_mul_f64 v[64:65], v[88:89], v[108:109]
	v_mul_f64 v[22:23], v[102:103], v[76:77]
	v_fmac_f64_e32 v[62:63], v[74:75], v[102:103]
	v_fmac_f64_e32 v[64:65], v[86:87], v[106:107]
	v_fma_f64 v[76:77], v[74:75], v[104:105], -v[22:23]
	v_mul_f64 v[22:23], v[106:107], v[88:89]
	v_mul_f64 v[36:37], v[18:19], v[70:71]
	v_add_f64 v[100:101], v[62:63], -v[64:65]
	v_fma_f64 v[74:75], v[86:87], v[108:109], -v[22:23]
	v_mul_f64 v[28:29], v[14:15], v[80:81]
	v_mul_f64 v[14:15], v[78:79], v[14:15]
	;; [unrolled: 1-line block ×3, first 2 shown]
	v_fmac_f64_e32 v[36:37], v[16:17], v[68:69]
	v_fmac_f64_e32 v[32:33], v[20:21], v[82:83]
	v_add_f64 v[96:97], v[38:39], -v[34:35]
	v_mul_f64 v[20:21], v[100:101], s[22:23]
	v_add_f64 v[82:83], v[76:77], v[74:75]
	v_fmac_f64_e32 v[26:27], v[0:1], v[44:45]
	v_fmac_f64_e32 v[28:29], v[12:13], v[78:79]
	v_fma_f64 v[44:45], v[12:13], v[80:81], -v[14:15]
	v_fma_f64 v[58:59], v[16:17], v[70:71], -v[18:19]
	v_add_f64 v[84:85], v[36:37], -v[32:33]
	v_add_f64 v[72:73], v[60:61], v[50:51]
	v_mul_f64 v[14:15], v[96:97], s[18:19]
	v_fma_f64 v[22:23], s[20:21], v[82:83], v[20:21]
	v_add_f64 v[80:81], v[30:31], -v[28:29]
	v_add_f64 v[70:71], v[58:59], v[48:49]
	v_mul_f64 v[12:13], v[84:85], s[12:13]
	v_fma_f64 v[18:19], s[16:17], v[72:73], v[14:15]
	s_waitcnt lgkmcnt(0)
	v_add_f64 v[22:23], v[6:7], v[22:23]
	v_fma_f64 v[20:21], v[82:83], s[20:21], -v[20:21]
	v_add_f64 v[78:79], v[24:25], -v[26:27]
	v_add_f64 v[68:69], v[46:47], v[44:45]
	v_mul_f64 v[10:11], v[80:81], s[14:15]
	v_fma_f64 v[16:17], s[8:9], v[70:71], v[12:13]
	v_add_f64 v[18:19], v[18:19], v[22:23]
	v_add_f64 v[108:109], v[76:77], -v[74:75]
	v_fma_f64 v[14:15], v[72:73], s[16:17], -v[14:15]
	v_add_f64 v[20:21], v[6:7], v[20:21]
	v_add_f64 v[66:67], v[40:41], v[42:43]
	v_mul_f64 v[8:9], v[78:79], s[10:11]
	v_fma_f64 v[2:3], s[4:5], v[68:69], v[10:11]
	v_add_f64 v[16:17], v[16:17], v[18:19]
	v_add_f64 v[106:107], v[60:61], -v[50:51]
	v_add_f64 v[94:95], v[62:63], v[64:65]
	v_mul_f64 v[110:111], v[108:109], s[22:23]
	v_fma_f64 v[12:13], v[70:71], s[8:9], -v[12:13]
	v_add_f64 v[14:15], v[14:15], v[20:21]
	v_fma_f64 v[0:1], s[0:1], v[66:67], v[8:9]
	v_add_f64 v[2:3], v[2:3], v[16:17]
	v_add_f64 v[104:105], v[58:59], -v[48:49]
	v_add_f64 v[92:93], v[38:39], v[34:35]
	v_mul_f64 v[22:23], v[106:107], s[18:19]
	v_fma_f64 v[112:113], v[94:95], s[20:21], -v[110:111]
	v_fma_f64 v[10:11], v[68:69], s[4:5], -v[10:11]
	v_add_f64 v[12:13], v[12:13], v[14:15]
	v_add_f64 v[2:3], v[0:1], v[2:3]
	v_add_f64 v[102:103], v[46:47], -v[44:45]
	v_add_f64 v[90:91], v[36:37], v[32:33]
	v_mul_f64 v[18:19], v[104:105], s[12:13]
	v_fma_f64 v[0:1], v[92:93], s[16:17], -v[22:23]
	v_add_f64 v[112:113], v[4:5], v[112:113]
	v_fma_f64 v[8:9], v[66:67], s[0:1], -v[8:9]
	v_add_f64 v[10:11], v[10:11], v[12:13]
	v_fmac_f64_e32 v[110:111], s[20:21], v[94:95]
	v_add_f64 v[88:89], v[30:31], v[28:29]
	v_mul_f64 v[16:17], v[102:103], s[14:15]
	v_add_f64 v[0:1], v[0:1], v[112:113]
	v_fma_f64 v[112:113], v[90:91], s[8:9], -v[18:19]
	v_add_f64 v[10:11], v[8:9], v[10:11]
	v_fmac_f64_e32 v[22:23], s[16:17], v[92:93]
	v_add_f64 v[8:9], v[4:5], v[110:111]
	v_add_f64 v[98:99], v[40:41], -v[42:43]
	v_add_f64 v[0:1], v[112:113], v[0:1]
	v_fma_f64 v[112:113], v[88:89], s[4:5], -v[16:17]
	v_fmac_f64_e32 v[18:19], s[8:9], v[90:91]
	v_add_f64 v[8:9], v[22:23], v[8:9]
	v_add_f64 v[86:87], v[24:25], v[26:27]
	v_add_f64 v[0:1], v[112:113], v[0:1]
	v_mul_f64 v[112:113], v[98:99], s[10:11]
	v_fmac_f64_e32 v[16:17], s[4:5], v[88:89]
	v_add_f64 v[8:9], v[18:19], v[8:9]
	v_fma_f64 v[114:115], v[86:87], s[0:1], -v[112:113]
	v_fmac_f64_e32 v[112:113], s[0:1], v[86:87]
	v_add_f64 v[8:9], v[16:17], v[8:9]
	v_mul_f64 v[110:111], v[100:101], s[12:13]
	v_add_f64 v[8:9], v[112:113], v[8:9]
	v_mul_f64 v[20:21], v[96:97], s[26:27]
	v_fma_f64 v[112:113], s[8:9], v[82:83], v[110:111]
	v_fma_f64 v[110:111], v[82:83], s[8:9], -v[110:111]
	v_mul_f64 v[18:19], v[84:85], s[24:25]
	v_fma_f64 v[22:23], s[0:1], v[72:73], v[20:21]
	v_add_f64 v[112:113], v[6:7], v[112:113]
	v_fma_f64 v[20:21], v[72:73], s[0:1], -v[20:21]
	v_add_f64 v[110:111], v[6:7], v[110:111]
	v_mul_f64 v[16:17], v[80:81], s[22:23]
	v_fma_f64 v[14:15], s[16:17], v[70:71], v[18:19]
	v_add_f64 v[22:23], v[22:23], v[112:113]
	v_mul_f64 v[112:113], v[108:109], s[12:13]
	v_add_f64 v[20:21], v[20:21], v[110:111]
	v_fma_f64 v[18:19], v[70:71], s[16:17], -v[18:19]
	v_add_f64 v[0:1], v[114:115], v[0:1]
	v_fma_f64 v[12:13], s[20:21], v[68:69], v[16:17]
	v_add_f64 v[14:15], v[14:15], v[22:23]
	v_mul_f64 v[22:23], v[106:107], s[26:27]
	v_fma_f64 v[114:115], v[94:95], s[8:9], -v[112:113]
	v_mul_f64 v[120:121], v[78:79], s[14:15]
	v_add_f64 v[18:19], v[18:19], v[20:21]
	v_fma_f64 v[16:17], v[68:69], s[20:21], -v[16:17]
	v_add_f64 v[12:13], v[12:13], v[14:15]
	v_fma_f64 v[14:15], v[92:93], s[0:1], -v[22:23]
	v_add_f64 v[114:115], v[4:5], v[114:115]
	v_add_f64 v[16:17], v[16:17], v[18:19]
	v_fma_f64 v[18:19], v[66:67], s[4:5], -v[120:121]
	v_fmac_f64_e32 v[112:113], s[8:9], v[94:95]
	v_add_f64 v[14:15], v[14:15], v[114:115]
	v_mul_f64 v[114:115], v[104:105], s[24:25]
	v_add_f64 v[18:19], v[18:19], v[16:17]
	v_fmac_f64_e32 v[22:23], s[0:1], v[92:93]
	v_add_f64 v[16:17], v[4:5], v[112:113]
	v_fma_f64 v[116:117], v[90:91], s[16:17], -v[114:115]
	v_fmac_f64_e32 v[114:115], s[16:17], v[90:91]
	v_add_f64 v[16:17], v[22:23], v[16:17]
	v_add_f64 v[14:15], v[116:117], v[14:15]
	v_mul_f64 v[116:117], v[102:103], s[22:23]
	v_add_f64 v[16:17], v[114:115], v[16:17]
	v_mul_f64 v[114:115], v[100:101], s[10:11]
	v_fma_f64 v[118:119], v[88:89], s[20:21], -v[116:117]
	v_mul_f64 v[112:113], v[96:97], s[28:29]
	v_fma_f64 v[22:23], s[0:1], v[82:83], v[114:115]
	v_add_f64 v[118:119], v[118:119], v[14:15]
	v_fma_f64 v[14:15], s[4:5], v[66:67], v[120:121]
	v_mul_f64 v[122:123], v[98:99], s[14:15]
	v_fmac_f64_e32 v[116:117], s[20:21], v[88:89]
	v_mul_f64 v[110:111], v[84:85], s[14:15]
	v_fma_f64 v[20:21], s[20:21], v[72:73], v[112:113]
	v_add_f64 v[22:23], v[6:7], v[22:23]
	v_add_f64 v[14:15], v[14:15], v[12:13]
	v_fma_f64 v[12:13], v[86:87], s[4:5], -v[122:123]
	v_add_f64 v[16:17], v[116:117], v[16:17]
	v_add_f64 v[20:21], v[20:21], v[22:23]
	v_fma_f64 v[22:23], s[4:5], v[70:71], v[110:111]
	v_mul_f64 v[116:117], v[80:81], s[24:25]
	v_add_f64 v[12:13], v[12:13], v[118:119]
	v_add_f64 v[20:21], v[22:23], v[20:21]
	v_fma_f64 v[22:23], s[16:17], v[68:69], v[116:117]
	v_mul_f64 v[118:119], v[108:109], s[10:11]
	v_fmac_f64_e32 v[122:123], s[4:5], v[86:87]
	v_add_f64 v[20:21], v[22:23], v[20:21]
	v_fma_f64 v[22:23], v[94:95], s[0:1], -v[118:119]
	v_mul_f64 v[120:121], v[106:107], s[28:29]
	v_fma_f64 v[114:115], v[82:83], s[0:1], -v[114:115]
	v_add_f64 v[16:17], v[122:123], v[16:17]
	v_add_f64 v[22:23], v[4:5], v[22:23]
	v_fma_f64 v[122:123], v[92:93], s[20:21], -v[120:121]
	v_fma_f64 v[112:113], v[72:73], s[20:21], -v[112:113]
	v_add_f64 v[114:115], v[6:7], v[114:115]
	v_add_f64 v[22:23], v[122:123], v[22:23]
	v_mul_f64 v[122:123], v[104:105], s[14:15]
	v_add_f64 v[112:113], v[112:113], v[114:115]
	v_fma_f64 v[110:111], v[70:71], s[4:5], -v[110:111]
	v_fma_f64 v[124:125], v[90:91], s[4:5], -v[122:123]
	v_add_f64 v[110:111], v[110:111], v[112:113]
	v_fma_f64 v[112:113], v[68:69], s[16:17], -v[116:117]
	v_fmac_f64_e32 v[118:119], s[0:1], v[94:95]
	v_add_f64 v[22:23], v[124:125], v[22:23]
	v_mul_f64 v[124:125], v[102:103], s[24:25]
	v_add_f64 v[110:111], v[112:113], v[110:111]
	v_fmac_f64_e32 v[120:121], s[20:21], v[92:93]
	v_add_f64 v[112:113], v[4:5], v[118:119]
	v_fma_f64 v[126:127], v[88:89], s[16:17], -v[124:125]
	v_mul_f64 v[128:129], v[78:79], s[12:13]
	v_add_f64 v[112:113], v[120:121], v[112:113]
	v_fmac_f64_e32 v[122:123], s[4:5], v[90:91]
	v_add_f64 v[126:127], v[126:127], v[22:23]
	v_fma_f64 v[22:23], s[8:9], v[66:67], v[128:129]
	v_mul_f64 v[130:131], v[98:99], s[12:13]
	v_add_f64 v[112:113], v[122:123], v[112:113]
	v_fmac_f64_e32 v[124:125], s[16:17], v[88:89]
	s_mov_b32 s15, 0xbfed1bb4
	v_add_f64 v[22:23], v[22:23], v[20:21]
	v_fma_f64 v[20:21], v[86:87], s[8:9], -v[130:131]
	v_add_f64 v[114:115], v[124:125], v[112:113]
	v_fma_f64 v[112:113], v[66:67], s[8:9], -v[128:129]
	v_fmac_f64_e32 v[130:131], s[8:9], v[86:87]
	v_mul_f64 v[118:119], v[100:101], s[14:15]
	v_add_f64 v[112:113], v[112:113], v[110:111]
	v_add_f64 v[110:111], v[130:131], v[114:115]
	v_fma_f64 v[114:115], s[4:5], v[82:83], v[118:119]
	v_mul_f64 v[120:121], v[96:97], s[12:13]
	v_add_f64 v[114:115], v[6:7], v[114:115]
	v_fma_f64 v[116:117], s[8:9], v[72:73], v[120:121]
	v_mul_f64 v[122:123], v[84:85], s[28:29]
	;; [unrolled: 3-line block ×3, first 2 shown]
	v_add_f64 v[20:21], v[20:21], v[126:127]
	v_add_f64 v[114:115], v[116:117], v[114:115]
	v_fma_f64 v[116:117], s[0:1], v[68:69], v[124:125]
	v_mul_f64 v[126:127], v[108:109], s[14:15]
	v_add_f64 v[114:115], v[116:117], v[114:115]
	v_fma_f64 v[116:117], v[94:95], s[4:5], -v[126:127]
	v_mul_f64 v[128:129], v[106:107], s[12:13]
	v_fma_f64 v[118:119], v[82:83], s[4:5], -v[118:119]
	v_add_f64 v[116:117], v[4:5], v[116:117]
	v_fma_f64 v[130:131], v[92:93], s[8:9], -v[128:129]
	v_fma_f64 v[120:121], v[72:73], s[8:9], -v[120:121]
	v_add_f64 v[118:119], v[6:7], v[118:119]
	v_add_f64 v[116:117], v[130:131], v[116:117]
	v_mul_f64 v[130:131], v[104:105], s[28:29]
	v_add_f64 v[118:119], v[120:121], v[118:119]
	v_fma_f64 v[120:121], v[70:71], s[20:21], -v[122:123]
	v_fma_f64 v[132:133], v[90:91], s[20:21], -v[130:131]
	v_add_f64 v[118:119], v[120:121], v[118:119]
	v_fma_f64 v[120:121], v[68:69], s[0:1], -v[124:125]
	v_fmac_f64_e32 v[126:127], s[4:5], v[94:95]
	v_add_f64 v[116:117], v[132:133], v[116:117]
	v_mul_f64 v[132:133], v[102:103], s[26:27]
	v_add_f64 v[118:119], v[120:121], v[118:119]
	v_fmac_f64_e32 v[128:129], s[8:9], v[92:93]
	v_add_f64 v[120:121], v[4:5], v[126:127]
	v_fma_f64 v[134:135], v[88:89], s[0:1], -v[132:133]
	v_mul_f64 v[136:137], v[78:79], s[18:19]
	v_add_f64 v[120:121], v[128:129], v[120:121]
	v_fmac_f64_e32 v[130:131], s[20:21], v[90:91]
	v_add_f64 v[134:135], v[134:135], v[116:117]
	v_fma_f64 v[116:117], s[16:17], v[66:67], v[136:137]
	v_mul_f64 v[138:139], v[98:99], s[18:19]
	v_add_f64 v[120:121], v[130:131], v[120:121]
	v_fmac_f64_e32 v[132:133], s[0:1], v[88:89]
	v_add_f64 v[116:117], v[116:117], v[114:115]
	v_fma_f64 v[114:115], v[86:87], s[16:17], -v[138:139]
	v_add_f64 v[122:123], v[132:133], v[120:121]
	v_fma_f64 v[120:121], v[66:67], s[16:17], -v[136:137]
	v_fmac_f64_e32 v[138:139], s[16:17], v[86:87]
	v_mul_f64 v[100:101], v[100:101], s[24:25]
	v_add_f64 v[120:121], v[120:121], v[118:119]
	v_add_f64 v[118:119], v[138:139], v[122:123]
	v_mul_f64 v[96:97], v[96:97], s[14:15]
	v_fma_f64 v[122:123], s[16:17], v[82:83], v[100:101]
	v_add_f64 v[122:123], v[6:7], v[122:123]
	v_fma_f64 v[124:125], s[4:5], v[72:73], v[96:97]
	v_mul_f64 v[84:85], v[84:85], s[10:11]
	v_add_f64 v[122:123], v[124:125], v[122:123]
	v_fma_f64 v[124:125], s[0:1], v[70:71], v[84:85]
	v_add_f64 v[122:123], v[124:125], v[122:123]
	v_mul_f64 v[124:125], v[80:81], s[12:13]
	v_fma_f64 v[80:81], s[8:9], v[68:69], v[124:125]
	v_mul_f64 v[108:109], v[108:109], s[24:25]
	v_add_f64 v[80:81], v[80:81], v[122:123]
	v_mul_f64 v[106:107], v[106:107], s[14:15]
	v_fma_f64 v[122:123], v[94:95], s[16:17], -v[108:109]
	v_add_f64 v[122:123], v[4:5], v[122:123]
	v_fma_f64 v[126:127], v[92:93], s[4:5], -v[106:107]
	v_mul_f64 v[104:105], v[104:105], s[10:11]
	v_fma_f64 v[82:83], v[82:83], s[16:17], -v[100:101]
	v_add_f64 v[122:123], v[126:127], v[122:123]
	v_fma_f64 v[126:127], v[90:91], s[0:1], -v[104:105]
	v_mul_f64 v[102:103], v[102:103], s[12:13]
	v_fma_f64 v[72:73], v[72:73], s[4:5], -v[96:97]
	v_add_f64 v[82:83], v[6:7], v[82:83]
	v_add_f64 v[122:123], v[126:127], v[122:123]
	v_fma_f64 v[126:127], v[88:89], s[8:9], -v[102:103]
	v_fma_f64 v[70:71], v[70:71], s[0:1], -v[84:85]
	v_add_f64 v[72:73], v[72:73], v[82:83]
	v_add_f64 v[122:123], v[126:127], v[122:123]
	v_mul_f64 v[126:127], v[78:79], s[22:23]
	v_fma_f64 v[68:69], v[68:69], s[8:9], -v[124:125]
	v_add_f64 v[70:71], v[70:71], v[72:73]
	v_fma_f64 v[78:79], s[20:21], v[66:67], v[126:127]
	v_fma_f64 v[66:67], v[66:67], s[20:21], -v[126:127]
	v_add_f64 v[68:69], v[68:69], v[70:71]
	v_fmac_f64_e32 v[108:109], s[16:17], v[94:95]
	v_add_f64 v[68:69], v[66:67], v[68:69]
	v_add_f64 v[66:67], v[4:5], v[108:109]
	;; [unrolled: 1-line block ×8, first 2 shown]
	v_mul_f64 v[98:99], v[98:99], s[22:23]
	v_add_f64 v[6:7], v[46:47], v[6:7]
	v_add_f64 v[4:5], v[30:31], v[4:5]
	v_add_f64 v[80:81], v[78:79], v[80:81]
	v_fma_f64 v[78:79], v[86:87], s[20:21], -v[98:99]
	v_add_f64 v[6:7], v[40:41], v[6:7]
	v_add_f64 v[4:5], v[24:25], v[4:5]
	;; [unrolled: 1-line block ×3, first 2 shown]
	v_mul_lo_u32 v57, s3, v54
	v_mul_lo_u32 v122, s2, v55
	v_mad_u64_u32 v[54:55], s[2:3], s2, v54, 0
	v_add_f64 v[6:7], v[42:43], v[6:7]
	v_add_f64 v[4:5], v[26:27], v[4:5]
	v_add3_u32 v55, v55, v122, v57
	v_fmac_f64_e32 v[106:107], s[4:5], v[92:93]
	v_add_f64 v[6:7], v[44:45], v[6:7]
	v_add_f64 v[4:5], v[28:29], v[4:5]
	v_fmac_f64_e32 v[104:105], s[0:1], v[90:91]
	v_add_f64 v[66:67], v[106:107], v[66:67]
	v_add_f64 v[6:7], v[48:49], v[6:7]
	;; [unrolled: 1-line block ×3, first 2 shown]
	v_lshl_add_u64 v[24:25], v[54:55], 4, s[6:7]
	v_fmac_f64_e32 v[102:103], s[8:9], v[88:89]
	v_add_f64 v[66:67], v[104:105], v[66:67]
	v_add_f64 v[6:7], v[50:51], v[6:7]
	;; [unrolled: 1-line block ×3, first 2 shown]
	v_mov_b32_e32 v57, 0
	v_lshl_add_u64 v[24:25], v[52:53], 4, v[24:25]
	v_fmac_f64_e32 v[98:99], s[20:21], v[86:87]
	v_add_f64 v[66:67], v[102:103], v[66:67]
	v_add_f64 v[6:7], v[74:75], v[6:7]
	;; [unrolled: 1-line block ×3, first 2 shown]
	v_lshl_add_u64 v[24:25], v[56:57], 4, v[24:25]
	v_add_f64 v[114:115], v[114:115], v[134:135]
	v_add_f64 v[66:67], v[98:99], v[66:67]
	global_store_dwordx4 v[24:25], v[4:7], off
	global_store_dwordx4 v[24:25], v[66:69], off offset:208
	global_store_dwordx4 v[24:25], v[118:121], off offset:416
	;; [unrolled: 1-line block ×10, first 2 shown]
.LBB0_16:
	s_endpgm
	.section	.rodata,"a",@progbits
	.p2align	6, 0x0
	.amdhsa_kernel fft_rtc_back_len143_factors_13_11_wgs_182_tpt_13_dp_op_CI_CI_unitstride_sbrr_dirReg
		.amdhsa_group_segment_fixed_size 0
		.amdhsa_private_segment_fixed_size 0
		.amdhsa_kernarg_size 104
		.amdhsa_user_sgpr_count 2
		.amdhsa_user_sgpr_dispatch_ptr 0
		.amdhsa_user_sgpr_queue_ptr 0
		.amdhsa_user_sgpr_kernarg_segment_ptr 1
		.amdhsa_user_sgpr_dispatch_id 0
		.amdhsa_user_sgpr_kernarg_preload_length 0
		.amdhsa_user_sgpr_kernarg_preload_offset 0
		.amdhsa_user_sgpr_private_segment_size 0
		.amdhsa_uses_dynamic_stack 0
		.amdhsa_enable_private_segment 0
		.amdhsa_system_sgpr_workgroup_id_x 1
		.amdhsa_system_sgpr_workgroup_id_y 0
		.amdhsa_system_sgpr_workgroup_id_z 0
		.amdhsa_system_sgpr_workgroup_info 0
		.amdhsa_system_vgpr_workitem_id 0
		.amdhsa_next_free_vgpr 140
		.amdhsa_next_free_sgpr 46
		.amdhsa_accum_offset 140
		.amdhsa_reserve_vcc 1
		.amdhsa_float_round_mode_32 0
		.amdhsa_float_round_mode_16_64 0
		.amdhsa_float_denorm_mode_32 3
		.amdhsa_float_denorm_mode_16_64 3
		.amdhsa_dx10_clamp 1
		.amdhsa_ieee_mode 1
		.amdhsa_fp16_overflow 0
		.amdhsa_tg_split 0
		.amdhsa_exception_fp_ieee_invalid_op 0
		.amdhsa_exception_fp_denorm_src 0
		.amdhsa_exception_fp_ieee_div_zero 0
		.amdhsa_exception_fp_ieee_overflow 0
		.amdhsa_exception_fp_ieee_underflow 0
		.amdhsa_exception_fp_ieee_inexact 0
		.amdhsa_exception_int_div_zero 0
	.end_amdhsa_kernel
	.text
.Lfunc_end0:
	.size	fft_rtc_back_len143_factors_13_11_wgs_182_tpt_13_dp_op_CI_CI_unitstride_sbrr_dirReg, .Lfunc_end0-fft_rtc_back_len143_factors_13_11_wgs_182_tpt_13_dp_op_CI_CI_unitstride_sbrr_dirReg
                                        ; -- End function
	.section	.AMDGPU.csdata,"",@progbits
; Kernel info:
; codeLenInByte = 8188
; NumSgprs: 52
; NumVgprs: 140
; NumAgprs: 0
; TotalNumVgprs: 140
; ScratchSize: 0
; MemoryBound: 1
; FloatMode: 240
; IeeeMode: 1
; LDSByteSize: 0 bytes/workgroup (compile time only)
; SGPRBlocks: 6
; VGPRBlocks: 17
; NumSGPRsForWavesPerEU: 52
; NumVGPRsForWavesPerEU: 140
; AccumOffset: 140
; Occupancy: 3
; WaveLimiterHint : 1
; COMPUTE_PGM_RSRC2:SCRATCH_EN: 0
; COMPUTE_PGM_RSRC2:USER_SGPR: 2
; COMPUTE_PGM_RSRC2:TRAP_HANDLER: 0
; COMPUTE_PGM_RSRC2:TGID_X_EN: 1
; COMPUTE_PGM_RSRC2:TGID_Y_EN: 0
; COMPUTE_PGM_RSRC2:TGID_Z_EN: 0
; COMPUTE_PGM_RSRC2:TIDIG_COMP_CNT: 0
; COMPUTE_PGM_RSRC3_GFX90A:ACCUM_OFFSET: 34
; COMPUTE_PGM_RSRC3_GFX90A:TG_SPLIT: 0
	.text
	.p2alignl 6, 3212836864
	.fill 256, 4, 3212836864
	.type	__hip_cuid_a83f96680a0162e,@object ; @__hip_cuid_a83f96680a0162e
	.section	.bss,"aw",@nobits
	.globl	__hip_cuid_a83f96680a0162e
__hip_cuid_a83f96680a0162e:
	.byte	0                               ; 0x0
	.size	__hip_cuid_a83f96680a0162e, 1

	.ident	"AMD clang version 19.0.0git (https://github.com/RadeonOpenCompute/llvm-project roc-6.4.0 25133 c7fe45cf4b819c5991fe208aaa96edf142730f1d)"
	.section	".note.GNU-stack","",@progbits
	.addrsig
	.addrsig_sym __hip_cuid_a83f96680a0162e
	.amdgpu_metadata
---
amdhsa.kernels:
  - .agpr_count:     0
    .args:
      - .actual_access:  read_only
        .address_space:  global
        .offset:         0
        .size:           8
        .value_kind:     global_buffer
      - .offset:         8
        .size:           8
        .value_kind:     by_value
      - .actual_access:  read_only
        .address_space:  global
        .offset:         16
        .size:           8
        .value_kind:     global_buffer
      - .actual_access:  read_only
        .address_space:  global
        .offset:         24
        .size:           8
        .value_kind:     global_buffer
      - .actual_access:  read_only
        .address_space:  global
        .offset:         32
        .size:           8
        .value_kind:     global_buffer
      - .offset:         40
        .size:           8
        .value_kind:     by_value
      - .actual_access:  read_only
        .address_space:  global
        .offset:         48
        .size:           8
        .value_kind:     global_buffer
      - .actual_access:  read_only
        .address_space:  global
        .offset:         56
        .size:           8
        .value_kind:     global_buffer
      - .offset:         64
        .size:           4
        .value_kind:     by_value
      - .actual_access:  read_only
        .address_space:  global
        .offset:         72
        .size:           8
        .value_kind:     global_buffer
      - .actual_access:  read_only
        .address_space:  global
        .offset:         80
        .size:           8
        .value_kind:     global_buffer
      - .actual_access:  read_only
        .address_space:  global
        .offset:         88
        .size:           8
        .value_kind:     global_buffer
      - .actual_access:  write_only
        .address_space:  global
        .offset:         96
        .size:           8
        .value_kind:     global_buffer
    .group_segment_fixed_size: 0
    .kernarg_segment_align: 8
    .kernarg_segment_size: 104
    .language:       OpenCL C
    .language_version:
      - 2
      - 0
    .max_flat_workgroup_size: 182
    .name:           fft_rtc_back_len143_factors_13_11_wgs_182_tpt_13_dp_op_CI_CI_unitstride_sbrr_dirReg
    .private_segment_fixed_size: 0
    .sgpr_count:     52
    .sgpr_spill_count: 0
    .symbol:         fft_rtc_back_len143_factors_13_11_wgs_182_tpt_13_dp_op_CI_CI_unitstride_sbrr_dirReg.kd
    .uniform_work_group_size: 1
    .uses_dynamic_stack: false
    .vgpr_count:     140
    .vgpr_spill_count: 0
    .wavefront_size: 64
amdhsa.target:   amdgcn-amd-amdhsa--gfx950
amdhsa.version:
  - 1
  - 2
...

	.end_amdgpu_metadata
